;; amdgpu-corpus repo=FlagOpen/FlagGems kind=triton arch=gfx90a opt=O3 lang=triton
	.amdgcn_target "amdgcn-amd-amdhsa--gfx90a"
	.amdhsa_code_object_version 5
	.text
	.globl	bmm_kernel                      ; -- Begin function bmm_kernel
	.p2align	8
	.type	bmm_kernel,@function
bmm_kernel:                             ; @bmm_kernel
.Lfunc_begin0:
	.cfi_sections .debug_frame
	.cfi_startproc
; %bb.6:
	.file	1 "/root/src/amdgpu-assembly/repos/FlagOpen__FlagGems/triton_aot_kernels" "bmm_aot.py"
	.loc	1 8 0 prologue_end              ; bmm_aot.py:8:0
	s_load_dwordx2 s[6:7], s[4:5], 0x0
	s_load_dwordx8 s[8:15], s[4:5], 0x8
	s_waitcnt lgkmcnt(0)
	s_branch .LBB0_0
	.loc	1 0 0 is_stmt 0                 ; :0:0
.Ltmp0:
	.p2align	8
; %bb.7:
.LBB0_0:
.Ltmp1:
	.loc	1 46 32 is_stmt 1               ; bmm_aot.py:46:32
	s_load_dwordx2 s[0:1], s[4:5], 0x58
	.loc	1 60 43                         ; bmm_aot.py:60:43
	v_and_b32_e32 v54, 31, v0
	v_and_b32_e32 v55, 0x80, v0
	;; [unrolled: 1-line block ×4, first 2 shown]
	.loc	1 50 36                         ; bmm_aot.py:50:36
	s_waitcnt lgkmcnt(0)
	s_lshl_b32 s1, s1, 3
	.loc	1 52 26                         ; bmm_aot.py:52:26
	s_abs_i32 s2, s1
	v_cvt_f32_u32_e32 v1, s2
	.loc	1 48 28                         ; bmm_aot.py:48:28
	s_mul_i32 s3, s0, s17
	.loc	1 48 21 is_stmt 0               ; bmm_aot.py:48:21
	s_add_i32 s3, s3, s16
	.loc	1 52 26 is_stmt 1               ; bmm_aot.py:52:26
	s_sub_i32 s16, 0, s2
	v_rcp_iflag_f32_e32 v1, v1
	s_abs_i32 s13, s3
	s_xor_b32 s12, s3, s1
	s_ashr_i32 s12, s12, 31
	v_mul_f32_e32 v1, 0x4f7ffffe, v1
	v_cvt_u32_f32_e32 v1, v1
	v_readfirstlane_b32 s17, v1
	s_mul_i32 s16, s16, s17
	s_mul_hi_u32 s16, s17, s16
	s_add_i32 s17, s17, s16
	s_mul_hi_u32 s16, s13, s17
	s_mul_i32 s17, s16, s2
	s_sub_i32 s13, s13, s17
	s_add_i32 s17, s16, 1
	s_sub_i32 s19, s13, s2
	s_cmp_ge_u32 s13, s2
	s_cselect_b32 s16, s17, s16
	s_cselect_b32 s13, s19, s13
	s_add_i32 s17, s16, 1
	s_cmp_ge_u32 s13, s2
	s_cselect_b32 s2, s17, s16
	s_xor_b32 s2, s2, s12
	s_sub_i32 s2, s2, s12
	.loc	1 55 60                         ; bmm_aot.py:55:60
	s_ashr_i32 s12, s0, 31
	s_lshr_b32 s12, s12, 29
	s_add_i32 s12, s0, s12
	.loc	1 53 31                         ; bmm_aot.py:53:31
	s_mul_i32 s1, s2, s1
	.loc	1 55 24                         ; bmm_aot.py:55:24
	s_lshl_b32 s2, s2, 3
	.loc	1 55 60 is_stmt 0               ; bmm_aot.py:55:60
	s_and_b32 s12, s12, -8
	.loc	1 53 31 is_stmt 1               ; bmm_aot.py:53:31
	s_sub_i32 s1, s3, s1
	.loc	1 55 34                         ; bmm_aot.py:55:34
	s_add_i32 s3, s2, 8
	.loc	1 55 60 is_stmt 0               ; bmm_aot.py:55:60
	s_sub_i32 s12, s0, s12
	.loc	1 55 45                         ; bmm_aot.py:55:45
	s_cmp_gt_i32 s3, s0
	.loc	1 55 69                         ; bmm_aot.py:55:69
	s_cselect_b32 s0, s12, 8
	.loc	1 58 34 is_stmt 1               ; bmm_aot.py:58:34
	s_abs_i32 s3, s0
	v_cvt_f32_u32_e32 v1, s3
	s_sub_i32 s13, 0, s3
	s_xor_b32 s12, s1, s0
	s_ashr_i32 s16, s12, 31
	v_rcp_iflag_f32_e32 v1, v1
	s_abs_i32 s12, s1
	v_mul_f32_e32 v1, 0x4f7ffffe, v1
	v_cvt_u32_f32_e32 v1, v1
	v_readfirstlane_b32 s17, v1
	s_mul_i32 s13, s13, s17
	s_mul_hi_u32 s13, s17, s13
	s_add_i32 s17, s17, s13
	s_mul_hi_u32 s13, s12, s17
	s_mul_i32 s17, s13, s3
	s_sub_i32 s12, s12, s17
	s_add_i32 s17, s13, 1
	s_sub_i32 s19, s12, s3
	s_cmp_ge_u32 s12, s3
	s_cselect_b32 s13, s17, s13
	s_cselect_b32 s12, s19, s12
	s_add_i32 s17, s13, 1
	s_cmp_ge_u32 s12, s3
	s_cselect_b32 s3, s17, s13
	s_xor_b32 s17, s3, s16
	s_sub_i32 s19, s17, s16
	.loc	1 57 54                         ; bmm_aot.py:57:54
	s_mul_i32 s0, s19, s0
	s_sub_i32 s0, s1, s0
	.loc	1 57 37 is_stmt 0               ; bmm_aot.py:57:37
	s_add_i32 s0, s0, s2
	.loc	1 60 21 is_stmt 1               ; bmm_aot.py:60:21
	s_lshl_b32 s26, s0, 6
.Ltmp2:
	.file	2 "/root/.local/lib/python3.13/site-packages/triton/language" "standard.py"
	.loc	2 43 17                         ; standard.py:43:17 @[ bmm_aot.py:73:27 ]
	s_add_i32 s12, s14, 31
.Ltmp3:
	.loc	1 78 19                         ; bmm_aot.py:78:19
	s_cmp_lt_i32 s12, 32
	s_cbranch_scc1 .LBB0_4
; %bb.1:                                ; %.lr.ph
	.loc	1 70 24                         ; bmm_aot.py:70:24
	v_and_b32_e32 v1, 0xc0, v0
	v_lshrrev_b32_e32 v6, 6, v0
	.loc	1 60 43                         ; bmm_aot.py:60:43
	v_and_b32_e32 v7, 63, v0
	v_lshrrev_b32_e32 v8, 5, v0
	v_lshlrev_b32_e32 v9, 1, v0
	v_lshlrev_b32_e32 v0, 2, v0
	s_load_dwordx4 s[0:3], s[4:5], 0x28
	s_load_dword s22, s[4:5], 0x38
	v_lshrrev_b32_e32 v1, 3, v1
	v_and_b32_e32 v0, 56, v0
	v_lshrrev_b32_e32 v11, 2, v52
	v_xor_b32_e32 v10, v9, v1
	v_lshlrev_b32_e32 v1, 6, v54
	v_lshlrev_b32_e32 v12, 4, v55
	v_xor_b32_e32 v0, v0, v11
	v_or3_b32 v11, v1, v12, v0
	v_lshl_add_u32 v0, v52, 4, 0
.Ltmp4:
	.loc	2 43 30                         ; standard.py:43:30 @[ bmm_aot.py:73:27 ]
	s_ashr_i32 s13, s12, 31
	v_lshl_add_u32 v12, v54, 1, v0
.Ltmp5:
	.loc	1 78 19                         ; bmm_aot.py:78:19
	v_or_b32_e32 v0, 28, v6
.Ltmp6:
	.loc	2 43 30                         ; standard.py:43:30 @[ bmm_aot.py:73:27 ]
	s_lshr_b32 s13, s13, 27
.Ltmp7:
	.loc	1 78 19                         ; bmm_aot.py:78:19
	s_waitcnt lgkmcnt(0)
	v_mul_lo_u32 v0, s3, v0
.Ltmp8:
	.loc	2 43 30                         ; standard.py:43:30 @[ bmm_aot.py:73:27 ]
	s_add_i32 s12, s12, s13
.Ltmp9:
	.loc	1 78 19                         ; bmm_aot.py:78:19
	v_ashrrev_i32_e32 v1, 31, v0
.Ltmp10:
	.loc	2 43 30                         ; standard.py:43:30 @[ bmm_aot.py:73:27 ]
	s_ashr_i32 s27, s12, 5
.Ltmp11:
	.loc	1 103 27                        ; bmm_aot.py:103:27
	s_lshl_b32 s12, s1, 5
	.loc	1 69 65                         ; bmm_aot.py:69:65
	v_mul_lo_u32 v4, s1, v54
	.loc	1 78 19                         ; bmm_aot.py:78:19
	v_lshlrev_b64 v[16:17], 1, v[0:1]
	v_lshl_or_b32 v0, s17, 6, v7
	s_lshl_b32 s1, s16, 6
	.loc	1 36 17                         ; bmm_aot.py:36:17
	s_mul_i32 s20, s2, s18
	.loc	1 78 19                         ; bmm_aot.py:78:19
	v_subrev_u32_e32 v0, s1, v0
	.loc	1 104 27                        ; bmm_aot.py:104:27
	s_lshl_b32 s14, s3, 5
	.loc	1 36 9                          ; bmm_aot.py:36:9
	s_ashr_i32 s21, s20, 31
	.loc	1 35 17                         ; bmm_aot.py:35:17
	s_mul_i32 s24, s15, s18
	.loc	1 78 19                         ; bmm_aot.py:78:19
	v_mul_lo_u32 v0, s22, v0
	.loc	1 35 9                          ; bmm_aot.py:35:9
	s_ashr_i32 s25, s24, 31
	s_ashr_i32 s13, s12, 31
	s_ashr_i32 s15, s14, 31
	.loc	1 78 19                         ; bmm_aot.py:78:19
	s_lshl_b64 s[20:21], s[20:21], 1
	v_ashrrev_i32_e32 v1, 31, v0
	v_lshlrev_b64 v[0:1], 1, v[0:1]
	s_add_u32 s1, s8, s20
	s_addc_u32 s2, s9, s21
	v_add_co_u32_e32 v18, vcc, s1, v0
	v_or_b32_e32 v0, 24, v6
	v_mov_b32_e32 v7, s2
	v_mul_lo_u32 v0, s3, v0
	v_addc_co_u32_e32 v19, vcc, v7, v1, vcc
	v_ashrrev_i32_e32 v1, 31, v0
	v_lshlrev_b64 v[20:21], 1, v[0:1]
	v_or_b32_e32 v0, 20, v6
	v_mul_lo_u32 v0, s3, v0
	v_ashrrev_i32_e32 v1, 31, v0
	v_lshlrev_b64 v[22:23], 1, v[0:1]
	v_or_b32_e32 v0, 16, v6
	v_mul_lo_u32 v0, s3, v0
	;; [unrolled: 4-line block ×3, first 2 shown]
	v_ashrrev_i32_e32 v1, 31, v0
	v_add_u32_e32 v7, s26, v8
	v_lshlrev_b64 v[26:27], 1, v[0:1]
	v_add_u32_e32 v0, 56, v7
	v_mul_lo_u32 v0, s0, v0
	s_lshl_b64 s[22:23], s[14:15], 1
	s_lshl_b64 s[8:9], s[24:25], 1
	v_ashrrev_i32_e32 v1, 31, v0
	v_lshlrev_b64 v[0:1], 1, v[0:1]
	s_add_u32 s1, s6, s8
	s_addc_u32 s2, s7, s9
	v_add_co_u32_e32 v28, vcc, s1, v0
	v_add_u32_e32 v0, 48, v7
	v_mov_b32_e32 v8, s2
	v_mul_lo_u32 v0, s0, v0
	v_addc_co_u32_e32 v29, vcc, v8, v1, vcc
	v_ashrrev_i32_e32 v1, 31, v0
	v_lshlrev_b64 v[0:1], 1, v[0:1]
	v_add_co_u32_e32 v30, vcc, s1, v0
	v_add_u32_e32 v0, 40, v7
	v_mul_lo_u32 v0, s0, v0
	v_addc_co_u32_e32 v31, vcc, v8, v1, vcc
	v_ashrrev_i32_e32 v1, 31, v0
	v_lshlrev_b64 v[0:1], 1, v[0:1]
	v_add_co_u32_e32 v32, vcc, s1, v0
	v_add_u32_e32 v0, 32, v7
	;; [unrolled: 6-line block ×5, first 2 shown]
	v_mul_lo_u32 v0, s0, v0
	v_addc_co_u32_e32 v39, vcc, v8, v1, vcc
	v_ashrrev_i32_e32 v1, 31, v0
	v_lshlrev_b64 v[0:1], 1, v[0:1]
	v_add_co_u32_e32 v40, vcc, s1, v0
	v_mul_lo_u32 v0, s0, v7
	v_addc_co_u32_e32 v41, vcc, v8, v1, vcc
	v_ashrrev_i32_e32 v1, 31, v0
	v_lshlrev_b64 v[0:1], 1, v[0:1]
	v_add_co_u32_e32 v42, vcc, s1, v0
	v_or_b32_e32 v0, 8, v6
	v_mov_b32_e32 v7, s2
	v_mul_lo_u32 v0, s3, v0
	v_addc_co_u32_e32 v43, vcc, v7, v1, vcc
	v_ashrrev_i32_e32 v1, 31, v0
	v_lshlrev_b64 v[44:45], 1, v[0:1]
	v_or_b32_e32 v0, 4, v6
	v_mul_lo_u32 v0, s3, v0
	v_ashrrev_i32_e32 v1, 31, v0
	v_lshlrev_b64 v[46:47], 1, v[0:1]
	v_xor_b32_e32 v0, 32, v10
	.loc	1 70 35                         ; bmm_aot.py:70:35
	v_mul_lo_u32 v2, s3, v6
	v_add_u32_e32 v57, 0, v0
	v_xor_b32_e32 v0, 16, v11
	.loc	1 70 17 is_stmt 0               ; bmm_aot.py:70:17
	v_ashrrev_i32_e32 v3, 31, v2
	v_xor_b32_e32 v1, 32, v11
	v_add_u32_e32 v59, 0, v0
	v_or_b32_e32 v0, 0x600, v9
	.loc	1 69 47 is_stmt 1               ; bmm_aot.py:69:47
	v_ashrrev_i32_e32 v5, 31, v4
	.loc	1 78 19                         ; bmm_aot.py:78:19
	v_lshlrev_b64 v[48:49], 1, v[2:3]
	v_xor_b32_e32 v2, 48, v11
	v_add_u32_e32 v60, 0, v1
	v_or_b32_e32 v1, 0xe00, v9
	v_add_u32_e32 v63, 0, v0
	v_mov_b32_e32 v0, 0
	v_lshlrev_b64 v[50:51], 1, v[4:5]
	s_lshl_b64 s[24:25], s[12:13], 1
	v_add_u32_e32 v56, 0, v10
	v_add_u32_e32 v58, 0, v11
	;; [unrolled: 1-line block ×6, first 2 shown]
	s_mov_b32 s28, 0x5040100
	v_mov_b32_e32 v1, v0
	v_mov_b32_e32 v2, v0
	;; [unrolled: 1-line block ×15, first 2 shown]
.LBB0_2:                                ; =>This Inner Loop Header: Depth=1
	.loc	1 99 28                         ; bmm_aot.py:99:28
	v_add_co_u32_e32 v66, vcc, v42, v50
	v_addc_co_u32_e32 v67, vcc, v43, v51, vcc
	v_add_co_u32_e32 v68, vcc, v40, v50
	v_addc_co_u32_e32 v69, vcc, v41, v51, vcc
	;; [unrolled: 2-line block ×6, first 2 shown]
	global_load_ushort v78, v[66:67], off
	v_add_co_u32_e32 v66, vcc, v30, v50
	v_addc_co_u32_e32 v67, vcc, v31, v51, vcc
	global_load_ushort v79, v[68:69], off
	v_add_co_u32_e32 v68, vcc, v28, v50
	v_addc_co_u32_e32 v69, vcc, v29, v51, vcc
	;; [unrolled: 3-line block ×8, first 2 shown]
	.loc	1 100 28                        ; bmm_aot.py:100:28
	global_load_ushort v86, v[70:71], off
	.loc	1 99 28                         ; bmm_aot.py:99:28
	v_add_co_u32_e32 v70, vcc, v18, v20
	v_addc_co_u32_e32 v71, vcc, v19, v21, vcc
	.loc	1 100 28                        ; bmm_aot.py:100:28
	global_load_ushort v87, v[72:73], off
	.loc	1 99 28                         ; bmm_aot.py:99:28
	v_add_co_u32_e32 v72, vcc, v18, v16
	v_addc_co_u32_e32 v73, vcc, v19, v17, vcc
	.loc	1 100 28                        ; bmm_aot.py:100:28
	global_load_ushort v88, v[74:75], off
	global_load_ushort v89, v[76:77], off
	;; [unrolled: 1-line block ×6, first 2 shown]
	.loc	1 99 28                         ; bmm_aot.py:99:28
	s_waitcnt lgkmcnt(0)
	s_barrier
	.loc	1 78 19                         ; bmm_aot.py:78:19
	v_add_co_u32_e32 v18, vcc, s22, v18
	v_add_co_u32_e64 v30, s[0:1], s24, v30
	v_add_co_u32_e64 v32, s[2:3], s24, v32
	;; [unrolled: 1-line block ×6, first 2 shown]
	.loc	1 99 28                         ; bmm_aot.py:99:28
	s_waitcnt vmcnt(15)
	ds_write_b16 v56, v78
	s_waitcnt vmcnt(13)
	ds_write_b16 v56, v80 offset:1024
	s_waitcnt vmcnt(11)
	ds_write_b16 v56, v82 offset:2048
	;; [unrolled: 2-line block ×3, first 2 shown]
	ds_write_b16 v57, v79 offset:512
	ds_write_b16 v57, v81 offset:1536
	;; [unrolled: 1-line block ×3, first 2 shown]
	s_waitcnt vmcnt(8)
	ds_write_b16 v57, v85 offset:3584
	s_waitcnt lgkmcnt(0)
	s_barrier
	ds_read_b64 v[74:75], v58
	ds_read_b64 v[76:77], v59
	;; [unrolled: 1-line block ×4, first 2 shown]
	.loc	1 100 28                        ; bmm_aot.py:100:28
	s_waitcnt lgkmcnt(0)
	s_barrier
	s_waitcnt vmcnt(7)
	ds_write_b16 v62, v86
	s_waitcnt vmcnt(6)
	ds_write_b16 v62, v87 offset:512
	s_waitcnt vmcnt(5)
	ds_write_b16 v62, v88 offset:1024
	s_waitcnt vmcnt(4)
	ds_write_b16 v63, v89
	s_waitcnt vmcnt(3)
	ds_write_b16 v62, v90 offset:2048
	s_waitcnt vmcnt(2)
	ds_write_b16 v62, v91 offset:2560
	;; [unrolled: 2-line block ×3, first 2 shown]
	s_waitcnt vmcnt(0)
	ds_write_b16 v64, v93
	s_waitcnt lgkmcnt(0)
	s_barrier
	ds_read_u16 v66, v65 offset:256
	ds_read_u16 v67, v65 offset:384
	ds_read_u16 v68, v65
	ds_read_u16 v69, v65 offset:1408
	ds_read_u16 v70, v65 offset:1024
	;; [unrolled: 1-line block ×4, first 2 shown]
	.loc	1 106 23                        ; bmm_aot.py:106:23
	s_waitcnt lgkmcnt(5)
	v_perm_b32 v67, v67, v66, s28
	.loc	1 78 19                         ; bmm_aot.py:78:19
	v_add_co_u32_e64 v42, s[16:17], s24, v42
	v_add_co_u32_e64 v28, s[20:21], s24, v28
	.loc	1 106 23                        ; bmm_aot.py:106:23
	s_waitcnt lgkmcnt(0)
	v_perm_b32 v66, v72, v68, s28
	.loc	1 78 19                         ; bmm_aot.py:78:19
	v_mov_b32_e32 v68, s23
	s_add_i32 s27, s27, -1
	.loc	1 106 23                        ; bmm_aot.py:106:23
	v_mfma_f32_32x32x8f16 v[0:15], v[66:67], v[74:75], v[0:15]
	.loc	1 100 28                        ; bmm_aot.py:100:28
	ds_read_u16 v66, v65 offset:1280
	.loc	1 78 19                         ; bmm_aot.py:78:19
	v_addc_co_u32_e32 v19, vcc, v19, v68, vcc
	s_cmp_lg_u32 s27, 0
	.loc	1 106 23                        ; bmm_aot.py:106:23
	s_waitcnt lgkmcnt(0)
	v_perm_b32 v67, v69, v66, s28
	v_perm_b32 v66, v71, v70, s28
	.loc	1 100 28                        ; bmm_aot.py:100:28
	ds_read_u16 v70, v65 offset:2304
	ds_read_u16 v71, v65 offset:2432
	;; [unrolled: 1-line block ×3, first 2 shown]
	.loc	1 78 19                         ; bmm_aot.py:78:19
	v_mov_b32_e32 v69, s25
	v_addc_co_u32_e64 v29, vcc, v29, v69, s[20:21]
	v_addc_co_u32_e64 v31, vcc, v31, v69, s[0:1]
	;; [unrolled: 1-line block ×3, first 2 shown]
	.loc	1 106 23                        ; bmm_aot.py:106:23
	v_mfma_f32_32x32x8f16 v[0:15], v[66:67], v[76:77], v[0:15]
	.loc	1 100 28                        ; bmm_aot.py:100:28
	ds_read_u16 v73, v65 offset:3328
	ds_read_u16 v74, v65 offset:3456
	;; [unrolled: 1-line block ×5, first 2 shown]
	.loc	1 106 23                        ; bmm_aot.py:106:23
	s_waitcnt lgkmcnt(6)
	v_perm_b32 v67, v71, v70, s28
	.loc	1 78 19                         ; bmm_aot.py:78:19
	v_addc_co_u32_e64 v35, vcc, v35, v69, s[6:7]
	v_addc_co_u32_e64 v37, vcc, v37, v69, s[8:9]
	.loc	1 106 23                        ; bmm_aot.py:106:23
	s_waitcnt lgkmcnt(0)
	v_perm_b32 v66, v66, v72, s28
	.loc	1 78 19                         ; bmm_aot.py:78:19
	v_addc_co_u32_e64 v39, vcc, v39, v69, s[12:13]
	v_addc_co_u32_e64 v41, vcc, v41, v69, s[14:15]
	;; [unrolled: 1-line block ×3, first 2 shown]
	.loc	1 106 23                        ; bmm_aot.py:106:23
	v_mfma_f32_32x32x8f16 v[0:15], v[66:67], v[78:79], v[0:15]
	v_perm_b32 v67, v74, v73, s28
	v_perm_b32 v66, v76, v75, s28
	s_nop 1
	v_mfma_f32_32x32x8f16 v[0:15], v[66:67], v[80:81], v[0:15]
	.loc	1 78 19                         ; bmm_aot.py:78:19
	s_cbranch_scc1 .LBB0_2
; %bb.3:                                ; %._crit_edge.loopexit
	.loc	1 116 24                        ; bmm_aot.py:116:24
	s_nop 15
	s_nop 1
	v_cvt_f16_f32_e32 v23, v0
	v_cvt_f16_f32_e32 v22, v1
	;; [unrolled: 1-line block ×16, first 2 shown]
	.loc	1 37 17                         ; bmm_aot.py:37:17
	s_branch .LBB0_5
.LBB0_4:
	.loc	1 0 17 is_stmt 0                ; bmm_aot.py:0:17
	v_mov_b32_e32 v0, 0
	v_mov_b32_e32 v1, 0
	;; [unrolled: 1-line block ×16, first 2 shown]
.LBB0_5:                                ; %Flow
	s_load_dwordx2 s[0:1], s[4:5], 0x3c
	s_load_dword s2, s[4:5], 0x44
	.loc	1 60 43 is_stmt 1               ; bmm_aot.py:60:43
	v_lshrrev_b32_e32 v8, 2, v55
	.loc	1 60 30 is_stmt 0               ; bmm_aot.py:60:30
	v_or3_b32 v8, v54, v8, s26
	.loc	1 37 17 is_stmt 1               ; bmm_aot.py:37:17
	s_waitcnt lgkmcnt(0)
	s_mul_i32 s4, s0, s18
	.loc	1 37 9 is_stmt 0                ; bmm_aot.py:37:9
	s_ashr_i32 s5, s4, 31
	s_lshl_b64 s[4:5], s[4:5], 1
	.loc	1 71 35 is_stmt 1               ; bmm_aot.py:71:35
	v_mul_lo_u32 v8, v8, s1
	.loc	1 37 9                          ; bmm_aot.py:37:9
	s_add_u32 s0, s10, s4
	.loc	1 71 17                         ; bmm_aot.py:71:17
	v_ashrrev_i32_e32 v9, 31, v8
	.loc	1 37 9                          ; bmm_aot.py:37:9
	s_addc_u32 s3, s11, s5
	.loc	1 71 17                         ; bmm_aot.py:71:17
	v_lshlrev_b64 v[8:9], 1, v[8:9]
	v_mov_b32_e32 v10, s3
	v_add_co_u32_e32 v48, vcc, s0, v8
	v_addc_co_u32_e32 v49, vcc, v10, v9, vcc
	.loc	1 60 43                         ; bmm_aot.py:60:43
	v_lshrrev_b32_e32 v8, 3, v52
	v_lshrrev_b32_e32 v9, 1, v53
	v_or_b32_e32 v8, v8, v9
	.loc	1 61 30                         ; bmm_aot.py:61:30
	v_lshl_or_b32 v46, s19, 6, v8
	v_or_b32_e32 v8, 27, v46
	.loc	1 71 65                         ; bmm_aot.py:71:65
	v_mul_lo_u32 v8, v8, s2
	.loc	1 71 47 is_stmt 0               ; bmm_aot.py:71:47
	v_ashrrev_i32_e32 v9, 31, v8
	.loc	1 61 30 is_stmt 1               ; bmm_aot.py:61:30
	v_or_b32_e32 v10, 26, v46
	.loc	1 71 47                         ; bmm_aot.py:71:47
	v_lshlrev_b64 v[8:9], 1, v[8:9]
	.loc	1 71 65 is_stmt 0               ; bmm_aot.py:71:65
	v_mul_lo_u32 v10, v10, s2
	.loc	1 71 47                         ; bmm_aot.py:71:47
	v_add_co_u32_e32 v8, vcc, v48, v8
	v_ashrrev_i32_e32 v11, 31, v10
	.loc	1 61 30 is_stmt 1               ; bmm_aot.py:61:30
	v_or_b32_e32 v12, 25, v46
	.loc	1 71 47                         ; bmm_aot.py:71:47
	v_addc_co_u32_e32 v9, vcc, v49, v9, vcc
	v_lshlrev_b64 v[10:11], 1, v[10:11]
	.loc	1 71 65 is_stmt 0               ; bmm_aot.py:71:65
	v_mul_lo_u32 v12, v12, s2
	.loc	1 71 47                         ; bmm_aot.py:71:47
	v_add_co_u32_e32 v10, vcc, v48, v10
	v_ashrrev_i32_e32 v13, 31, v12
	.loc	1 61 30 is_stmt 1               ; bmm_aot.py:61:30
	v_or_b32_e32 v14, 24, v46
	.loc	1 71 47                         ; bmm_aot.py:71:47
	v_addc_co_u32_e32 v11, vcc, v49, v11, vcc
	;; [unrolled: 10-line block ×13, first 2 shown]
	v_lshlrev_b64 v[42:43], 1, v[42:43]
	.loc	1 71 65 is_stmt 0               ; bmm_aot.py:71:65
	v_mul_lo_u32 v44, v44, s2
	.loc	1 71 47                         ; bmm_aot.py:71:47
	v_add_co_u32_e32 v42, vcc, v48, v42
	v_ashrrev_i32_e32 v45, 31, v44
	v_addc_co_u32_e32 v43, vcc, v49, v43, vcc
	v_lshlrev_b64 v[44:45], 1, v[44:45]
	.loc	1 71 65                         ; bmm_aot.py:71:65
	v_mul_lo_u32 v46, v46, s2
	.loc	1 71 47                         ; bmm_aot.py:71:47
	v_add_co_u32_e32 v44, vcc, v48, v44
	v_ashrrev_i32_e32 v47, 31, v46
	v_addc_co_u32_e32 v45, vcc, v49, v45, vcc
	v_lshlrev_b64 v[46:47], 1, v[46:47]
	v_add_co_u32_e32 v46, vcc, v48, v46
	v_addc_co_u32_e32 v47, vcc, v49, v47, vcc
	.loc	1 116 24 is_stmt 1              ; bmm_aot.py:116:24
	global_store_short v[46:47], v23, off
	global_store_short v[44:45], v22, off
	;; [unrolled: 1-line block ×16, first 2 shown]
	.loc	1 116 4 is_stmt 0               ; bmm_aot.py:116:4
	s_endpgm
.Ltmp12:
	.section	.rodata,"a",@progbits
	.p2align	6, 0x0
	.amdhsa_kernel bmm_kernel
		.amdhsa_group_segment_fixed_size 0
		.amdhsa_private_segment_fixed_size 0
		.amdhsa_kernarg_size 344
		.amdhsa_user_sgpr_count 16
		.amdhsa_user_sgpr_private_segment_buffer 1
		.amdhsa_user_sgpr_dispatch_ptr 0
		.amdhsa_user_sgpr_queue_ptr 0
		.amdhsa_user_sgpr_kernarg_segment_ptr 1
		.amdhsa_user_sgpr_dispatch_id 0
		.amdhsa_user_sgpr_flat_scratch_init 0
		.amdhsa_user_sgpr_kernarg_preload_length 10
		.amdhsa_user_sgpr_kernarg_preload_offset 0
		.amdhsa_user_sgpr_private_segment_size 0
		.amdhsa_uses_dynamic_stack 0
		.amdhsa_system_sgpr_private_segment_wavefront_offset 0
		.amdhsa_system_sgpr_workgroup_id_x 1
		.amdhsa_system_sgpr_workgroup_id_y 1
		.amdhsa_system_sgpr_workgroup_id_z 1
		.amdhsa_system_sgpr_workgroup_info 0
		.amdhsa_system_vgpr_workitem_id 0
		.amdhsa_next_free_vgpr 94
		.amdhsa_next_free_sgpr 29
		.amdhsa_accum_offset 96
		.amdhsa_reserve_vcc 1
		.amdhsa_reserve_flat_scratch 0
		.amdhsa_reserve_xnack_mask 1
		.amdhsa_float_round_mode_32 0
		.amdhsa_float_round_mode_16_64 0
		.amdhsa_float_denorm_mode_32 3
		.amdhsa_float_denorm_mode_16_64 3
		.amdhsa_dx10_clamp 1
		.amdhsa_ieee_mode 1
		.amdhsa_fp16_overflow 0
		.amdhsa_tg_split 0
		.amdhsa_exception_fp_ieee_invalid_op 0
		.amdhsa_exception_fp_denorm_src 0
		.amdhsa_exception_fp_ieee_div_zero 0
		.amdhsa_exception_fp_ieee_overflow 0
		.amdhsa_exception_fp_ieee_underflow 0
		.amdhsa_exception_fp_ieee_inexact 0
		.amdhsa_exception_int_div_zero 0
	.end_amdhsa_kernel
	.text
.Lfunc_end0:
	.size	bmm_kernel, .Lfunc_end0-bmm_kernel
	.cfi_endproc
                                        ; -- End function
	.set bmm_kernel.num_vgpr, 94
	.set bmm_kernel.num_agpr, 0
	.set bmm_kernel.numbered_sgpr, 29
	.set bmm_kernel.num_named_barrier, 0
	.set bmm_kernel.private_seg_size, 0
	.set bmm_kernel.uses_vcc, 1
	.set bmm_kernel.uses_flat_scratch, 0
	.set bmm_kernel.has_dyn_sized_stack, 0
	.set bmm_kernel.has_recursion, 0
	.set bmm_kernel.has_indirect_call, 0
	.section	.AMDGPU.csdata,"",@progbits
; Kernel info:
; codeLenInByte = 3220
; TotalNumSgprs: 33
; NumVgprs: 94
; NumAgprs: 0
; TotalNumVgprs: 94
; ScratchSize: 0
; MemoryBound: 0
; FloatMode: 240
; IeeeMode: 1
; LDSByteSize: 0 bytes/workgroup (compile time only)
; SGPRBlocks: 4
; VGPRBlocks: 11
; NumSGPRsForWavesPerEU: 33
; NumVGPRsForWavesPerEU: 94
; AccumOffset: 96
; Occupancy: 5
; WaveLimiterHint : 0
; COMPUTE_PGM_RSRC2:SCRATCH_EN: 0
; COMPUTE_PGM_RSRC2:USER_SGPR: 16
; COMPUTE_PGM_RSRC2:TRAP_HANDLER: 0
; COMPUTE_PGM_RSRC2:TGID_X_EN: 1
; COMPUTE_PGM_RSRC2:TGID_Y_EN: 1
; COMPUTE_PGM_RSRC2:TGID_Z_EN: 1
; COMPUTE_PGM_RSRC2:TIDIG_COMP_CNT: 0
; COMPUTE_PGM_RSRC3_GFX90A:ACCUM_OFFSET: 23
; COMPUTE_PGM_RSRC3_GFX90A:TG_SPLIT: 0
	.text
	.p2alignl 6, 3212836864
	.fill 256, 4, 3212836864
	.section	.AMDGPU.gpr_maximums,"",@progbits
	.set amdgpu.max_num_vgpr, 0
	.set amdgpu.max_num_agpr, 0
	.set amdgpu.max_num_sgpr, 0
	.set amdgpu.max_num_named_barrier, 0
	.text
	.section	.debug_abbrev,"",@progbits
	.byte	1                               ; Abbreviation Code
	.byte	17                              ; DW_TAG_compile_unit
	.byte	1                               ; DW_CHILDREN_yes
	.byte	37                              ; DW_AT_producer
	.byte	14                              ; DW_FORM_strp
	.byte	19                              ; DW_AT_language
	.byte	5                               ; DW_FORM_data2
	.byte	3                               ; DW_AT_name
	.byte	14                              ; DW_FORM_strp
	.byte	16                              ; DW_AT_stmt_list
	.byte	23                              ; DW_FORM_sec_offset
	.byte	27                              ; DW_AT_comp_dir
	.byte	14                              ; DW_FORM_strp
	.byte	17                              ; DW_AT_low_pc
	.byte	1                               ; DW_FORM_addr
	.byte	18                              ; DW_AT_high_pc
	.byte	6                               ; DW_FORM_data4
	.byte	0                               ; EOM(1)
	.byte	0                               ; EOM(2)
	.byte	2                               ; Abbreviation Code
	.byte	46                              ; DW_TAG_subprogram
	.byte	0                               ; DW_CHILDREN_no
	.byte	3                               ; DW_AT_name
	.byte	14                              ; DW_FORM_strp
	.byte	32                              ; DW_AT_inline
	.byte	11                              ; DW_FORM_data1
	.byte	0                               ; EOM(1)
	.byte	0                               ; EOM(2)
	.byte	3                               ; Abbreviation Code
	.byte	46                              ; DW_TAG_subprogram
	.byte	1                               ; DW_CHILDREN_yes
	.byte	17                              ; DW_AT_low_pc
	.byte	1                               ; DW_FORM_addr
	.byte	18                              ; DW_AT_high_pc
	.byte	6                               ; DW_FORM_data4
	.byte	49                              ; DW_AT_abstract_origin
	.byte	19                              ; DW_FORM_ref4
	.byte	0                               ; EOM(1)
	.byte	0                               ; EOM(2)
	.byte	4                               ; Abbreviation Code
	.byte	29                              ; DW_TAG_inlined_subroutine
	.byte	0                               ; DW_CHILDREN_no
	.byte	49                              ; DW_AT_abstract_origin
	.byte	19                              ; DW_FORM_ref4
	.byte	85                              ; DW_AT_ranges
	.byte	23                              ; DW_FORM_sec_offset
	.byte	88                              ; DW_AT_call_file
	.byte	11                              ; DW_FORM_data1
	.byte	89                              ; DW_AT_call_line
	.byte	11                              ; DW_FORM_data1
	.byte	87                              ; DW_AT_call_column
	.byte	11                              ; DW_FORM_data1
	.byte	0                               ; EOM(1)
	.byte	0                               ; EOM(2)
	.byte	0                               ; EOM(3)
	.section	.debug_info,"",@progbits
.Lcu_begin0:
	.long	.Ldebug_info_end0-.Ldebug_info_start0 ; Length of Unit
.Ldebug_info_start0:
	.short	4                               ; DWARF version number
	.long	.debug_abbrev                   ; Offset Into Abbrev. Section
	.byte	8                               ; Address Size (in bytes)
	.byte	1                               ; Abbrev [1] 0xb:0x44 DW_TAG_compile_unit
	.long	.Linfo_string0                  ; DW_AT_producer
	.short	2                               ; DW_AT_language
	.long	.Linfo_string1                  ; DW_AT_name
	.long	.Lline_table_start0             ; DW_AT_stmt_list
	.long	.Linfo_string2                  ; DW_AT_comp_dir
	.quad	.Lfunc_begin0                   ; DW_AT_low_pc
	.long	.Lfunc_end0-.Lfunc_begin0       ; DW_AT_high_pc
	.byte	2                               ; Abbrev [2] 0x2a:0x6 DW_TAG_subprogram
	.long	.Linfo_string3                  ; DW_AT_name
	.byte	1                               ; DW_AT_inline
	.byte	3                               ; Abbrev [3] 0x30:0x1e DW_TAG_subprogram
	.quad	.Lfunc_begin0                   ; DW_AT_low_pc
	.long	.Lfunc_end0-.Lfunc_begin0       ; DW_AT_high_pc
	.long	42                              ; DW_AT_abstract_origin
	.byte	4                               ; Abbrev [4] 0x41:0xc DW_TAG_inlined_subroutine
	.long	42                              ; DW_AT_abstract_origin
	.long	.Ldebug_ranges0                 ; DW_AT_ranges
	.byte	1                               ; DW_AT_call_file
	.byte	73                              ; DW_AT_call_line
	.byte	27                              ; DW_AT_call_column
	.byte	0                               ; End Of Children Mark
	.byte	0                               ; End Of Children Mark
.Ldebug_info_end0:
	.section	.debug_ranges,"",@progbits
.Ldebug_ranges0:
	.quad	.Ltmp2-.Lfunc_begin0
	.quad	.Ltmp3-.Lfunc_begin0
	.quad	.Ltmp4-.Lfunc_begin0
	.quad	.Ltmp5-.Lfunc_begin0
	.quad	.Ltmp6-.Lfunc_begin0
	.quad	.Ltmp7-.Lfunc_begin0
	.quad	.Ltmp8-.Lfunc_begin0
	.quad	.Ltmp9-.Lfunc_begin0
	.quad	.Ltmp10-.Lfunc_begin0
	.quad	.Ltmp11-.Lfunc_begin0
	.quad	0
	.quad	0
	.section	.debug_str,"MS",@progbits,1
.Linfo_string0:
	.asciz	"triton"                        ; string offset=0
.Linfo_string1:
	.asciz	"bmm_aot.py"                    ; string offset=7
.Linfo_string2:
	.asciz	"/root/src/amdgpu-assembly/repos/FlagOpen__FlagGems/triton_aot_kernels" ; string offset=18
.Linfo_string3:
	.asciz	"bmm_kernel"                    ; string offset=88
	.section	".note.GNU-stack","",@progbits
	.amdgpu_metadata
---
amdhsa.kernels:
  - .agpr_count:     0
    .args:
      - .address_space:  global
        .offset:         0
        .size:           8
        .value_kind:     global_buffer
      - .address_space:  global
        .offset:         8
        .size:           8
        .value_kind:     global_buffer
      - .address_space:  global
        .offset:         16
        .size:           8
        .value_kind:     global_buffer
      - .offset:         24
        .size:           4
        .value_kind:     by_value
      - .offset:         28
        .size:           4
        .value_kind:     by_value
      - .offset:         32
        .size:           4
        .value_kind:     by_value
      - .offset:         36
        .size:           4
        .value_kind:     by_value
      - .offset:         40
        .size:           4
        .value_kind:     by_value
      - .offset:         44
        .size:           4
        .value_kind:     by_value
      - .offset:         48
        .size:           4
        .value_kind:     by_value
      - .offset:         52
        .size:           4
        .value_kind:     by_value
      - .offset:         56
        .size:           4
        .value_kind:     by_value
      - .offset:         60
        .size:           4
        .value_kind:     by_value
      - .offset:         64
        .size:           4
        .value_kind:     by_value
      - .offset:         68
        .size:           4
        .value_kind:     by_value
      - .address_space:  global
        .offset:         72
        .size:           8
        .value_kind:     global_buffer
      - .address_space:  global
        .offset:         80
        .size:           8
        .value_kind:     global_buffer
      - .offset:         88
        .size:           4
        .value_kind:     hidden_block_count_x
      - .offset:         92
        .size:           4
        .value_kind:     hidden_block_count_y
      - .offset:         96
        .size:           4
        .value_kind:     hidden_block_count_z
      - .offset:         100
        .size:           2
        .value_kind:     hidden_group_size_x
      - .offset:         102
        .size:           2
        .value_kind:     hidden_group_size_y
      - .offset:         104
        .size:           2
        .value_kind:     hidden_group_size_z
      - .offset:         106
        .size:           2
        .value_kind:     hidden_remainder_x
      - .offset:         108
        .size:           2
        .value_kind:     hidden_remainder_y
      - .offset:         110
        .size:           2
        .value_kind:     hidden_remainder_z
      - .offset:         128
        .size:           8
        .value_kind:     hidden_global_offset_x
      - .offset:         136
        .size:           8
        .value_kind:     hidden_global_offset_y
      - .offset:         144
        .size:           8
        .value_kind:     hidden_global_offset_z
      - .offset:         152
        .size:           2
        .value_kind:     hidden_grid_dims
      - .offset:         208
        .size:           4
        .value_kind:     hidden_dynamic_lds_size
    .group_segment_fixed_size: 0
    .kernarg_segment_align: 8
    .kernarg_segment_size: 344
    .max_flat_workgroup_size: 256
    .name:           bmm_kernel
    .private_segment_fixed_size: 0
    .sgpr_count:     33
    .sgpr_spill_count: 0
    .symbol:         bmm_kernel.kd
    .uniform_work_group_size: 1
    .uses_dynamic_stack: false
    .vgpr_count:     94
    .vgpr_spill_count: 0
    .wavefront_size: 64
amdhsa.target:   amdgcn-amd-amdhsa--gfx90a
amdhsa.version:
  - 1
  - 2
...

	.end_amdgpu_metadata
	.section	.debug_line,"",@progbits
.Lline_table_start0:
